;; amdgpu-corpus repo=zjin-lcf/HeCBench kind=compiled arch=gfx1030 opt=O3
	.amdgcn_target "amdgcn-amd-amdhsa--gfx1030"
	.amdhsa_code_object_version 6
	.text
	.protected	_Z4rtm8PKfS0_S0_PfS1_S1_S0_m ; -- Begin function _Z4rtm8PKfS0_S0_PfS1_S1_S0_m
	.globl	_Z4rtm8PKfS0_S0_PfS1_S1_S0_m
	.p2align	8
	.type	_Z4rtm8PKfS0_S0_PfS1_S1_S0_m,@function
_Z4rtm8PKfS0_S0_PfS1_S1_S0_m:           ; @_Z4rtm8PKfS0_S0_PfS1_S1_S0_m
; %bb.0:
	s_load_dwordx2 s[0:1], s[4:5], 0x4c
	s_waitcnt lgkmcnt(0)
	s_lshr_b32 s2, s0, 16
	s_and_b32 s0, s0, 0xffff
	v_mad_u64_u32 v[3:4], null, s7, s2, v[1:2]
	s_and_b32 s1, s1, 0xffff
	v_mad_u64_u32 v[10:11], null, s6, s0, v[0:1]
	v_mad_u64_u32 v[0:1], null, s8, s1, v[2:3]
	v_add_nc_u32_e32 v11, -4, v3
	v_add_nc_u32_e32 v22, -4, v10
	v_cmp_gt_u32_e64 s0, 0x7e, v11
	v_add_nc_u32_e32 v47, -4, v0
	v_cmp_gt_u32_e32 vcc_lo, 0x2a0, v22
	v_cmp_gt_u32_e64 s1, 0x1ba, v47
	s_and_b32 s0, vcc_lo, s0
	s_and_b32 s0, s0, s1
	s_and_saveexec_b32 s1, s0
	s_cbranch_execz .LBB0_2
; %bb.1:
	v_mul_lo_u32 v23, 0x2a8, v3
	v_mul_lo_u32 v49, 0x163f0, v0
	s_clause 0x2
	s_load_dwordx8 s[8:15], s[4:5], 0x0
	s_load_dwordx4 s[0:3], s[4:5], 0x20
	s_load_dwordx2 s[16:17], s[4:5], 0x30
	v_mov_b32_e32 v46, 0
	s_waitcnt lgkmcnt(0)
	s_clause 0x1
	s_load_dwordx4 s[4:7], s[16:17], 0x0
	s_load_dword s16, s[16:17], 0x10
	v_add_nc_u32_e32 v44, v23, v10
	v_mov_b32_e32 v9, v46
	v_add_nc_u32_e32 v45, v44, v49
	v_lshlrev_b64 v[4:5], 2, v[45:46]
	v_add_nc_u32_e32 v8, -1, v45
	v_add_co_u32 v0, vcc_lo, s10, v4
	v_add_co_ci_u32_e64 v1, null, s11, v5, vcc_lo
	v_lshlrev_b64 v[8:9], 2, v[8:9]
	global_load_dword v48, v[0:1], off
	v_add_co_u32 v0, s17, v44, v49
	v_add_co_ci_u32_e64 v1, null, 0, 0, s17
	v_lshlrev_b64 v[6:7], 2, v[0:1]
	v_add_co_u32 v0, vcc_lo, s10, v6
	v_add_co_ci_u32_e64 v1, null, s11, v7, vcc_lo
	v_add_co_u32 v12, vcc_lo, s10, v8
	v_add_co_ci_u32_e64 v13, null, s11, v9, vcc_lo
	s_clause 0x1
	global_load_dwordx4 v[0:3], v[0:1], off offset:4
	global_load_dword v12, v[12:13], off
	v_mov_b32_e32 v13, v46
	s_waitcnt vmcnt(0)
	v_add_f32_e32 v0, v0, v12
	v_add_nc_u32_e32 v12, 0x2a8, v45
	v_lshlrev_b64 v[12:13], 2, v[12:13]
	v_add_co_u32 v14, vcc_lo, s10, v12
	v_add_co_ci_u32_e64 v15, null, s11, v13, vcc_lo
	global_load_dword v14, v[14:15], off
	v_mov_b32_e32 v15, v46
	s_waitcnt vmcnt(0)
	v_add_f32_e32 v0, v0, v14
	v_add_nc_u32_e32 v14, 0xfffffd58, v45
	v_lshlrev_b64 v[14:15], 2, v[14:15]
	v_add_co_u32 v16, vcc_lo, s10, v14
	v_add_co_ci_u32_e64 v17, null, s11, v15, vcc_lo
	;; [unrolled: 8-line block ×4, first 2 shown]
	global_load_dword v20, v[20:21], off
	v_mov_b32_e32 v21, v46
	s_waitcnt vmcnt(0)
	v_add_f32_e32 v0, v0, v20
	v_add_nc_u32_e32 v20, -2, v45
	s_waitcnt lgkmcnt(0)
	v_mul_f32_e32 v50, s5, v0
	v_lshlrev_b64 v[20:21], 2, v[20:21]
	v_fmac_f32_e32 v50, s4, v48
	v_add_co_u32 v24, vcc_lo, s10, v20
	v_add_co_ci_u32_e64 v25, null, s11, v21, vcc_lo
	global_load_dword v0, v[24:25], off
	s_waitcnt vmcnt(0)
	v_add_f32_e32 v24, v1, v0
	v_add_nc_u32_e32 v0, 0x550, v45
	v_mov_b32_e32 v1, v46
	v_lshlrev_b64 v[26:27], 2, v[0:1]
	v_add_co_u32 v0, vcc_lo, s10, v26
	v_add_co_ci_u32_e64 v1, null, s11, v27, vcc_lo
	global_load_dword v0, v[0:1], off
	v_mov_b32_e32 v1, v46
	s_waitcnt vmcnt(0)
	v_add_f32_e32 v24, v24, v0
	v_add_nc_u32_e32 v0, 0xfffffab0, v45
	v_lshlrev_b64 v[28:29], 2, v[0:1]
	v_add_co_u32 v0, vcc_lo, s10, v28
	v_add_co_ci_u32_e64 v1, null, s11, v29, vcc_lo
	global_load_dword v0, v[0:1], off
	v_mov_b32_e32 v1, v46
	s_waitcnt vmcnt(0)
	v_add_f32_e32 v24, v24, v0
	v_add_nc_u32_e32 v0, 0x2c7e0, v45
	;; [unrolled: 8-line block ×3, first 2 shown]
	v_lshlrev_b64 v[38:39], 2, v[0:1]
	v_add_co_u32 v0, vcc_lo, s10, v38
	v_add_co_ci_u32_e64 v1, null, s11, v39, vcc_lo
	global_load_dword v0, v[0:1], off
	v_mov_b32_e32 v1, v46
	s_waitcnt vmcnt(0)
	v_add_f32_e32 v0, v24, v0
	v_fmac_f32_e32 v50, s6, v0
	v_add_nc_u32_e32 v0, -3, v45
	v_lshlrev_b64 v[42:43], 2, v[0:1]
	v_add_co_u32 v0, vcc_lo, s10, v42
	v_add_co_ci_u32_e64 v1, null, s11, v43, vcc_lo
	global_load_dword v0, v[0:1], off
	v_mov_b32_e32 v1, v46
	s_waitcnt vmcnt(0)
	v_add_f32_e32 v2, v2, v0
	v_add_nc_u32_e32 v0, 0x7f8, v45
	v_lshlrev_b64 v[40:41], 2, v[0:1]
	v_add_co_u32 v0, vcc_lo, s10, v40
	v_add_co_ci_u32_e64 v1, null, s11, v41, vcc_lo
	global_load_dword v0, v[0:1], off
	v_mov_b32_e32 v1, v46
	s_waitcnt vmcnt(0)
	v_add_f32_e32 v2, v2, v0
	v_add_nc_u32_e32 v0, 0xfffff808, v45
	;; [unrolled: 8-line block ×4, first 2 shown]
	v_lshlrev_b64 v[30:31], 2, v[0:1]
	v_add_co_u32 v0, vcc_lo, s10, v30
	v_add_co_ci_u32_e64 v1, null, s11, v31, vcc_lo
	global_load_dword v0, v[0:1], off
	v_mov_b32_e32 v1, v46
	s_waitcnt vmcnt(0)
	v_add_f32_e32 v0, v2, v0
	v_fmac_f32_e32 v50, s7, v0
	v_add3_u32 v0, v49, v23, v22
	v_lshlrev_b64 v[24:25], 2, v[0:1]
	v_add_co_u32 v0, vcc_lo, s10, v24
	v_add_co_ci_u32_e64 v1, null, s11, v25, vcc_lo
	global_load_dword v0, v[0:1], off
	v_mov_b32_e32 v1, v46
	s_waitcnt vmcnt(0)
	v_add_f32_e32 v2, v3, v0
	v_add_nc_u32_e32 v0, 0xaa0, v45
	v_add_nc_u32_e32 v45, 0x58fc0, v45
	v_lshlrev_b64 v[22:23], 2, v[0:1]
	v_add_co_u32 v0, vcc_lo, s10, v22
	v_add_co_ci_u32_e64 v1, null, s11, v23, vcc_lo
	global_load_dword v0, v[0:1], off
	v_mov_b32_e32 v1, v46
	s_waitcnt vmcnt(0)
	v_add_f32_e32 v2, v2, v0
	v_mul_lo_u32 v0, 0x2a8, v11
	v_add3_u32 v0, v49, v10, v0
	v_lshlrev_b64 v[10:11], 2, v[0:1]
	v_add_co_u32 v0, vcc_lo, s10, v10
	v_add_co_ci_u32_e64 v1, null, s11, v11, vcc_lo
	global_load_dword v0, v[0:1], off
	s_waitcnt vmcnt(0)
	v_add_f32_e32 v49, v2, v0
	v_lshlrev_b64 v[2:3], 2, v[45:46]
	v_add_co_u32 v0, vcc_lo, s10, v2
	v_add_co_ci_u32_e64 v1, null, s11, v3, vcc_lo
	global_load_dword v0, v[0:1], off
	s_waitcnt vmcnt(0)
	v_add_f32_e32 v49, v49, v0
	v_mad_u64_u32 v[0:1], null, 0x163f0, v47, v[44:45]
	v_mov_b32_e32 v1, v46
	v_lshlrev_b64 v[0:1], 2, v[0:1]
	v_add_co_u32 v44, vcc_lo, s10, v0
	v_add_co_ci_u32_e64 v45, null, s11, v1, vcc_lo
	v_add_co_u32 v46, vcc_lo, s14, v4
	v_add_co_ci_u32_e64 v47, null, s15, v5, vcc_lo
	global_load_dword v44, v[44:45], off
	s_waitcnt vmcnt(0)
	v_add_f32_e32 v44, v49, v44
	v_fmac_f32_e32 v50, s16, v44
	global_load_dword v44, v[46:47], off
	s_waitcnt vmcnt(0)
	v_fma_f32 v44, v48, 2.0, -v44
	v_add_co_u32 v48, vcc_lo, s8, v4
	v_add_co_ci_u32_e64 v49, null, s9, v5, vcc_lo
	global_load_dword v45, v[48:49], off
	s_waitcnt vmcnt(0)
	v_fmac_f32_e32 v44, v45, v50
	global_store_dword v[46:47], v44, off
	v_add_co_u32 v46, vcc_lo, s12, v4
	v_add_co_ci_u32_e64 v47, null, s13, v5, vcc_lo
	v_add_co_u32 v6, vcc_lo, s12, v6
	v_add_co_ci_u32_e64 v7, null, s13, v7, vcc_lo
	s_clause 0x1
	global_load_dword v46, v[46:47], off
	global_load_dwordx4 v[47:50], v[6:7], off offset:4
	v_add_co_u32 v6, vcc_lo, s12, v8
	v_add_co_ci_u32_e64 v7, null, s13, v9, vcc_lo
	global_load_dword v6, v[6:7], off
	s_waitcnt vmcnt(0)
	v_add_f32_e32 v8, v47, v6
	v_add_co_u32 v6, vcc_lo, s12, v12
	v_add_co_ci_u32_e64 v7, null, s13, v13, vcc_lo
	global_load_dword v6, v[6:7], off
	s_waitcnt vmcnt(0)
	v_add_f32_e32 v8, v8, v6
	;; [unrolled: 5-line block ×4, first 2 shown]
	v_add_co_u32 v6, vcc_lo, s12, v18
	v_add_co_ci_u32_e64 v7, null, s13, v19, vcc_lo
	global_load_dword v6, v[6:7], off
	v_add_co_u32 v7, vcc_lo, s12, v20
	s_waitcnt vmcnt(0)
	v_add_f32_e32 v6, v8, v6
	v_add_co_ci_u32_e64 v8, null, s13, v21, vcc_lo
	v_mul_f32_e32 v6, s5, v6
	global_load_dword v7, v[7:8], off
	v_fmac_f32_e32 v6, s4, v46
	s_waitcnt vmcnt(0)
	v_add_f32_e32 v9, v48, v7
	v_add_co_u32 v7, vcc_lo, s12, v26
	v_add_co_ci_u32_e64 v8, null, s13, v27, vcc_lo
	global_load_dword v7, v[7:8], off
	s_waitcnt vmcnt(0)
	v_add_f32_e32 v9, v9, v7
	v_add_co_u32 v7, vcc_lo, s12, v28
	v_add_co_ci_u32_e64 v8, null, s13, v29, vcc_lo
	global_load_dword v7, v[7:8], off
	;; [unrolled: 5-line block ×4, first 2 shown]
	s_waitcnt vmcnt(0)
	v_add_f32_e32 v7, v9, v7
	v_fmac_f32_e32 v6, s6, v7
	v_add_co_u32 v7, vcc_lo, s12, v42
	v_add_co_ci_u32_e64 v8, null, s13, v43, vcc_lo
	global_load_dword v7, v[7:8], off
	s_waitcnt vmcnt(0)
	v_add_f32_e32 v9, v49, v7
	v_add_co_u32 v7, vcc_lo, s12, v40
	v_add_co_ci_u32_e64 v8, null, s13, v41, vcc_lo
	global_load_dword v7, v[7:8], off
	s_waitcnt vmcnt(0)
	v_add_f32_e32 v9, v9, v7
	;; [unrolled: 5-line block ×5, first 2 shown]
	v_fmac_f32_e32 v6, s7, v7
	v_add_co_u32 v7, vcc_lo, s12, v24
	v_add_co_ci_u32_e64 v8, null, s13, v25, vcc_lo
	global_load_dword v7, v[7:8], off
	s_waitcnt vmcnt(0)
	v_add_f32_e32 v9, v50, v7
	v_add_co_u32 v7, vcc_lo, s12, v22
	v_add_co_ci_u32_e64 v8, null, s13, v23, vcc_lo
	global_load_dword v7, v[7:8], off
	s_waitcnt vmcnt(0)
	v_add_f32_e32 v9, v9, v7
	v_add_co_u32 v7, vcc_lo, s12, v10
	v_add_co_ci_u32_e64 v8, null, s13, v11, vcc_lo
	v_add_co_u32 v2, vcc_lo, s12, v2
	v_add_co_ci_u32_e64 v3, null, s13, v3, vcc_lo
	global_load_dword v7, v[7:8], off
	v_add_co_u32 v0, vcc_lo, s12, v0
	global_load_dword v2, v[2:3], off
	v_add_co_ci_u32_e64 v1, null, s13, v1, vcc_lo
	global_load_dword v0, v[0:1], off
	s_waitcnt vmcnt(2)
	v_add_f32_e32 v7, v9, v7
	s_waitcnt vmcnt(1)
	v_add_f32_e32 v2, v7, v2
	;; [unrolled: 2-line block ×3, first 2 shown]
	v_fmac_f32_e32 v6, s16, v0
	v_add_co_u32 v0, vcc_lo, s0, v4
	v_add_co_ci_u32_e64 v1, null, s1, v5, vcc_lo
	global_load_dword v2, v[0:1], off
	s_waitcnt vmcnt(0)
	v_fma_f32 v2, v46, 2.0, -v2
	v_fmac_f32_e32 v2, v45, v6
	global_store_dword v[0:1], v2, off
	v_add_co_u32 v0, vcc_lo, s2, v4
	v_mul_f32_e32 v2, v44, v2
	v_add_co_ci_u32_e64 v1, null, s3, v5, vcc_lo
	global_store_dword v[0:1], v2, off
.LBB0_2:
	s_endpgm
	.section	.rodata,"a",@progbits
	.p2align	6, 0x0
	.amdhsa_kernel _Z4rtm8PKfS0_S0_PfS1_S1_S0_m
		.amdhsa_group_segment_fixed_size 0
		.amdhsa_private_segment_fixed_size 0
		.amdhsa_kernarg_size 320
		.amdhsa_user_sgpr_count 6
		.amdhsa_user_sgpr_private_segment_buffer 1
		.amdhsa_user_sgpr_dispatch_ptr 0
		.amdhsa_user_sgpr_queue_ptr 0
		.amdhsa_user_sgpr_kernarg_segment_ptr 1
		.amdhsa_user_sgpr_dispatch_id 0
		.amdhsa_user_sgpr_flat_scratch_init 0
		.amdhsa_user_sgpr_private_segment_size 0
		.amdhsa_wavefront_size32 1
		.amdhsa_uses_dynamic_stack 0
		.amdhsa_system_sgpr_private_segment_wavefront_offset 0
		.amdhsa_system_sgpr_workgroup_id_x 1
		.amdhsa_system_sgpr_workgroup_id_y 1
		.amdhsa_system_sgpr_workgroup_id_z 1
		.amdhsa_system_sgpr_workgroup_info 0
		.amdhsa_system_vgpr_workitem_id 2
		.amdhsa_next_free_vgpr 51
		.amdhsa_next_free_sgpr 18
		.amdhsa_reserve_vcc 1
		.amdhsa_reserve_flat_scratch 0
		.amdhsa_float_round_mode_32 0
		.amdhsa_float_round_mode_16_64 0
		.amdhsa_float_denorm_mode_32 3
		.amdhsa_float_denorm_mode_16_64 3
		.amdhsa_dx10_clamp 1
		.amdhsa_ieee_mode 1
		.amdhsa_fp16_overflow 0
		.amdhsa_workgroup_processor_mode 1
		.amdhsa_memory_ordered 1
		.amdhsa_forward_progress 1
		.amdhsa_shared_vgpr_count 0
		.amdhsa_exception_fp_ieee_invalid_op 0
		.amdhsa_exception_fp_denorm_src 0
		.amdhsa_exception_fp_ieee_div_zero 0
		.amdhsa_exception_fp_ieee_overflow 0
		.amdhsa_exception_fp_ieee_underflow 0
		.amdhsa_exception_fp_ieee_inexact 0
		.amdhsa_exception_int_div_zero 0
	.end_amdhsa_kernel
	.text
.Lfunc_end0:
	.size	_Z4rtm8PKfS0_S0_PfS1_S1_S0_m, .Lfunc_end0-_Z4rtm8PKfS0_S0_PfS1_S1_S0_m
                                        ; -- End function
	.set _Z4rtm8PKfS0_S0_PfS1_S1_S0_m.num_vgpr, 51
	.set _Z4rtm8PKfS0_S0_PfS1_S1_S0_m.num_agpr, 0
	.set _Z4rtm8PKfS0_S0_PfS1_S1_S0_m.numbered_sgpr, 18
	.set _Z4rtm8PKfS0_S0_PfS1_S1_S0_m.num_named_barrier, 0
	.set _Z4rtm8PKfS0_S0_PfS1_S1_S0_m.private_seg_size, 0
	.set _Z4rtm8PKfS0_S0_PfS1_S1_S0_m.uses_vcc, 1
	.set _Z4rtm8PKfS0_S0_PfS1_S1_S0_m.uses_flat_scratch, 0
	.set _Z4rtm8PKfS0_S0_PfS1_S1_S0_m.has_dyn_sized_stack, 0
	.set _Z4rtm8PKfS0_S0_PfS1_S1_S0_m.has_recursion, 0
	.set _Z4rtm8PKfS0_S0_PfS1_S1_S0_m.has_indirect_call, 0
	.section	.AMDGPU.csdata,"",@progbits
; Kernel info:
; codeLenInByte = 2220
; TotalNumSgprs: 20
; NumVgprs: 51
; ScratchSize: 0
; MemoryBound: 0
; FloatMode: 240
; IeeeMode: 1
; LDSByteSize: 0 bytes/workgroup (compile time only)
; SGPRBlocks: 0
; VGPRBlocks: 6
; NumSGPRsForWavesPerEU: 20
; NumVGPRsForWavesPerEU: 51
; Occupancy: 16
; WaveLimiterHint : 0
; COMPUTE_PGM_RSRC2:SCRATCH_EN: 0
; COMPUTE_PGM_RSRC2:USER_SGPR: 6
; COMPUTE_PGM_RSRC2:TRAP_HANDLER: 0
; COMPUTE_PGM_RSRC2:TGID_X_EN: 1
; COMPUTE_PGM_RSRC2:TGID_Y_EN: 1
; COMPUTE_PGM_RSRC2:TGID_Z_EN: 1
; COMPUTE_PGM_RSRC2:TIDIG_COMP_CNT: 2
	.text
	.p2alignl 6, 3214868480
	.fill 48, 4, 3214868480
	.section	.AMDGPU.gpr_maximums,"",@progbits
	.set amdgpu.max_num_vgpr, 0
	.set amdgpu.max_num_agpr, 0
	.set amdgpu.max_num_sgpr, 0
	.text
	.type	__hip_cuid_226c033d0e3e9ab1,@object ; @__hip_cuid_226c033d0e3e9ab1
	.section	.bss,"aw",@nobits
	.globl	__hip_cuid_226c033d0e3e9ab1
__hip_cuid_226c033d0e3e9ab1:
	.byte	0                               ; 0x0
	.size	__hip_cuid_226c033d0e3e9ab1, 1

	.ident	"AMD clang version 22.0.0git (https://github.com/RadeonOpenCompute/llvm-project roc-7.2.4 26084 f58b06dce1f9c15707c5f808fd002e18c2accf7e)"
	.section	".note.GNU-stack","",@progbits
	.addrsig
	.addrsig_sym __hip_cuid_226c033d0e3e9ab1
	.amdgpu_metadata
---
amdhsa.kernels:
  - .args:
      - .actual_access:  read_only
        .address_space:  global
        .offset:         0
        .size:           8
        .value_kind:     global_buffer
      - .actual_access:  read_only
        .address_space:  global
        .offset:         8
        .size:           8
        .value_kind:     global_buffer
      - .actual_access:  read_only
        .address_space:  global
        .offset:         16
        .size:           8
        .value_kind:     global_buffer
      - .address_space:  global
        .offset:         24
        .size:           8
        .value_kind:     global_buffer
      - .address_space:  global
        .offset:         32
        .size:           8
        .value_kind:     global_buffer
      - .actual_access:  write_only
        .address_space:  global
        .offset:         40
        .size:           8
        .value_kind:     global_buffer
      - .actual_access:  read_only
        .address_space:  global
        .offset:         48
        .size:           8
        .value_kind:     global_buffer
      - .offset:         56
        .size:           8
        .value_kind:     by_value
      - .offset:         64
        .size:           4
        .value_kind:     hidden_block_count_x
      - .offset:         68
        .size:           4
        .value_kind:     hidden_block_count_y
      - .offset:         72
        .size:           4
        .value_kind:     hidden_block_count_z
      - .offset:         76
        .size:           2
        .value_kind:     hidden_group_size_x
      - .offset:         78
        .size:           2
        .value_kind:     hidden_group_size_y
      - .offset:         80
        .size:           2
        .value_kind:     hidden_group_size_z
      - .offset:         82
        .size:           2
        .value_kind:     hidden_remainder_x
      - .offset:         84
        .size:           2
        .value_kind:     hidden_remainder_y
      - .offset:         86
        .size:           2
        .value_kind:     hidden_remainder_z
      - .offset:         104
        .size:           8
        .value_kind:     hidden_global_offset_x
      - .offset:         112
        .size:           8
        .value_kind:     hidden_global_offset_y
      - .offset:         120
        .size:           8
        .value_kind:     hidden_global_offset_z
      - .offset:         128
        .size:           2
        .value_kind:     hidden_grid_dims
    .group_segment_fixed_size: 0
    .kernarg_segment_align: 8
    .kernarg_segment_size: 320
    .language:       OpenCL C
    .language_version:
      - 2
      - 0
    .max_flat_workgroup_size: 1024
    .name:           _Z4rtm8PKfS0_S0_PfS1_S1_S0_m
    .private_segment_fixed_size: 0
    .sgpr_count:     20
    .sgpr_spill_count: 0
    .symbol:         _Z4rtm8PKfS0_S0_PfS1_S1_S0_m.kd
    .uniform_work_group_size: 1
    .uses_dynamic_stack: false
    .vgpr_count:     51
    .vgpr_spill_count: 0
    .wavefront_size: 32
    .workgroup_processor_mode: 1
amdhsa.target:   amdgcn-amd-amdhsa--gfx1030
amdhsa.version:
  - 1
  - 2
...

	.end_amdgpu_metadata
